;; amdgpu-corpus repo=ROCm/rocFFT kind=compiled arch=gfx1201 opt=O3
	.text
	.amdgcn_target "amdgcn-amd-amdhsa--gfx1201"
	.amdhsa_code_object_version 6
	.protected	fft_rtc_back_len120_factors_6_10_2_wgs_60_tpt_12_halfLds_sp_op_CI_CI_sbrr_dirReg ; -- Begin function fft_rtc_back_len120_factors_6_10_2_wgs_60_tpt_12_halfLds_sp_op_CI_CI_sbrr_dirReg
	.globl	fft_rtc_back_len120_factors_6_10_2_wgs_60_tpt_12_halfLds_sp_op_CI_CI_sbrr_dirReg
	.p2align	8
	.type	fft_rtc_back_len120_factors_6_10_2_wgs_60_tpt_12_halfLds_sp_op_CI_CI_sbrr_dirReg,@function
fft_rtc_back_len120_factors_6_10_2_wgs_60_tpt_12_halfLds_sp_op_CI_CI_sbrr_dirReg: ; @fft_rtc_back_len120_factors_6_10_2_wgs_60_tpt_12_halfLds_sp_op_CI_CI_sbrr_dirReg
; %bb.0:
	s_clause 0x1
	s_load_b128 s[12:15], s[0:1], 0x18
	s_load_b128 s[8:11], s[0:1], 0x0
	v_mul_u32_u24_e32 v1, 0x1556, v0
	v_dual_mov_b32 v3, 0 :: v_dual_mov_b32 v20, 0
	v_mov_b32_e32 v21, 0
	s_load_b128 s[4:7], s[0:1], 0x58
	s_wait_kmcnt 0x0
	s_load_b64 s[18:19], s[12:13], 0x0
	s_load_b64 s[16:17], s[14:15], 0x0
	v_lshrrev_b32_e32 v1, 16, v1
	v_cmp_lt_u64_e64 s2, s[10:11], 2
	s_delay_alu instid0(VALU_DEP_2) | instskip(SKIP_2) | instid1(VALU_DEP_4)
	v_mad_co_u64_u32 v[7:8], null, ttmp9, 5, v[1:2]
	v_dual_mov_b32 v8, v3 :: v_dual_mov_b32 v1, v20
	v_mov_b32_e32 v2, v21
	s_and_b32 vcc_lo, exec_lo, s2
	s_delay_alu instid0(VALU_DEP_2)
	v_dual_mov_b32 v5, v7 :: v_dual_mov_b32 v6, v8
	s_cbranch_vccnz .LBB0_8
; %bb.1:
	s_load_b64 s[2:3], s[0:1], 0x10
	v_dual_mov_b32 v20, 0 :: v_dual_mov_b32 v9, v8
	v_dual_mov_b32 v21, 0 :: v_dual_mov_b32 v8, v7
	s_delay_alu instid0(VALU_DEP_2) | instskip(SKIP_2) | instid1(VALU_DEP_2)
	v_mov_b32_e32 v1, v20
	s_add_nc_u64 s[20:21], s[14:15], 8
	s_add_nc_u64 s[22:23], s[12:13], 8
	v_mov_b32_e32 v2, v21
	s_mov_b64 s[24:25], 1
	s_wait_kmcnt 0x0
	s_add_nc_u64 s[26:27], s[2:3], 8
	s_mov_b32 s3, 0
.LBB0_2:                                ; =>This Inner Loop Header: Depth=1
	s_load_b64 s[28:29], s[26:27], 0x0
                                        ; implicit-def: $vgpr5_vgpr6
	s_mov_b32 s2, exec_lo
	s_wait_kmcnt 0x0
	v_or_b32_e32 v4, s29, v9
	s_delay_alu instid0(VALU_DEP_1)
	v_cmpx_ne_u64_e32 0, v[3:4]
	s_wait_alu 0xfffe
	s_xor_b32 s30, exec_lo, s2
	s_cbranch_execz .LBB0_4
; %bb.3:                                ;   in Loop: Header=BB0_2 Depth=1
	s_cvt_f32_u32 s2, s28
	s_cvt_f32_u32 s31, s29
	s_sub_nc_u64 s[36:37], 0, s[28:29]
	s_wait_alu 0xfffe
	s_delay_alu instid0(SALU_CYCLE_1) | instskip(SKIP_1) | instid1(SALU_CYCLE_2)
	s_fmamk_f32 s2, s31, 0x4f800000, s2
	s_wait_alu 0xfffe
	v_s_rcp_f32 s2, s2
	s_delay_alu instid0(TRANS32_DEP_1) | instskip(SKIP_1) | instid1(SALU_CYCLE_2)
	s_mul_f32 s2, s2, 0x5f7ffffc
	s_wait_alu 0xfffe
	s_mul_f32 s31, s2, 0x2f800000
	s_wait_alu 0xfffe
	s_delay_alu instid0(SALU_CYCLE_2) | instskip(SKIP_1) | instid1(SALU_CYCLE_2)
	s_trunc_f32 s31, s31
	s_wait_alu 0xfffe
	s_fmamk_f32 s2, s31, 0xcf800000, s2
	s_cvt_u32_f32 s35, s31
	s_wait_alu 0xfffe
	s_delay_alu instid0(SALU_CYCLE_1) | instskip(SKIP_1) | instid1(SALU_CYCLE_2)
	s_cvt_u32_f32 s34, s2
	s_wait_alu 0xfffe
	s_mul_u64 s[38:39], s[36:37], s[34:35]
	s_wait_alu 0xfffe
	s_mul_hi_u32 s41, s34, s39
	s_mul_i32 s40, s34, s39
	s_mul_hi_u32 s2, s34, s38
	s_mul_i32 s33, s35, s38
	s_wait_alu 0xfffe
	s_add_nc_u64 s[40:41], s[2:3], s[40:41]
	s_mul_hi_u32 s31, s35, s38
	s_mul_hi_u32 s42, s35, s39
	s_add_co_u32 s2, s40, s33
	s_wait_alu 0xfffe
	s_add_co_ci_u32 s2, s41, s31
	s_mul_i32 s38, s35, s39
	s_add_co_ci_u32 s39, s42, 0
	s_wait_alu 0xfffe
	s_add_nc_u64 s[38:39], s[2:3], s[38:39]
	s_wait_alu 0xfffe
	v_add_co_u32 v4, s2, s34, s38
	s_delay_alu instid0(VALU_DEP_1) | instskip(SKIP_1) | instid1(VALU_DEP_1)
	s_cmp_lg_u32 s2, 0
	s_add_co_ci_u32 s35, s35, s39
	v_readfirstlane_b32 s34, v4
	s_wait_alu 0xfffe
	s_delay_alu instid0(VALU_DEP_1)
	s_mul_u64 s[36:37], s[36:37], s[34:35]
	s_wait_alu 0xfffe
	s_mul_hi_u32 s39, s34, s37
	s_mul_i32 s38, s34, s37
	s_mul_hi_u32 s2, s34, s36
	s_mul_i32 s33, s35, s36
	s_wait_alu 0xfffe
	s_add_nc_u64 s[38:39], s[2:3], s[38:39]
	s_mul_hi_u32 s31, s35, s36
	s_mul_hi_u32 s34, s35, s37
	s_wait_alu 0xfffe
	s_add_co_u32 s2, s38, s33
	s_add_co_ci_u32 s2, s39, s31
	s_mul_i32 s36, s35, s37
	s_add_co_ci_u32 s37, s34, 0
	s_wait_alu 0xfffe
	s_add_nc_u64 s[36:37], s[2:3], s[36:37]
	s_wait_alu 0xfffe
	v_add_co_u32 v6, s2, v4, s36
	s_delay_alu instid0(VALU_DEP_1) | instskip(SKIP_1) | instid1(VALU_DEP_1)
	s_cmp_lg_u32 s2, 0
	s_add_co_ci_u32 s2, s35, s37
	v_mul_hi_u32 v14, v8, v6
	s_wait_alu 0xfffe
	v_mad_co_u64_u32 v[4:5], null, v8, s2, 0
	v_mad_co_u64_u32 v[10:11], null, v9, v6, 0
	;; [unrolled: 1-line block ×3, first 2 shown]
	s_delay_alu instid0(VALU_DEP_3) | instskip(SKIP_1) | instid1(VALU_DEP_4)
	v_add_co_u32 v4, vcc_lo, v14, v4
	s_wait_alu 0xfffd
	v_add_co_ci_u32_e32 v5, vcc_lo, 0, v5, vcc_lo
	s_delay_alu instid0(VALU_DEP_2) | instskip(SKIP_1) | instid1(VALU_DEP_2)
	v_add_co_u32 v4, vcc_lo, v4, v10
	s_wait_alu 0xfffd
	v_add_co_ci_u32_e32 v4, vcc_lo, v5, v11, vcc_lo
	s_wait_alu 0xfffd
	v_add_co_ci_u32_e32 v5, vcc_lo, 0, v13, vcc_lo
	s_delay_alu instid0(VALU_DEP_2) | instskip(SKIP_1) | instid1(VALU_DEP_2)
	v_add_co_u32 v10, vcc_lo, v4, v12
	s_wait_alu 0xfffd
	v_add_co_ci_u32_e32 v6, vcc_lo, 0, v5, vcc_lo
	s_delay_alu instid0(VALU_DEP_2) | instskip(SKIP_1) | instid1(VALU_DEP_3)
	v_mul_lo_u32 v11, s29, v10
	v_mad_co_u64_u32 v[4:5], null, s28, v10, 0
	v_mul_lo_u32 v12, s28, v6
	s_delay_alu instid0(VALU_DEP_2) | instskip(NEXT) | instid1(VALU_DEP_2)
	v_sub_co_u32 v4, vcc_lo, v8, v4
	v_add3_u32 v5, v5, v12, v11
	s_delay_alu instid0(VALU_DEP_1) | instskip(SKIP_1) | instid1(VALU_DEP_1)
	v_sub_nc_u32_e32 v11, v9, v5
	s_wait_alu 0xfffd
	v_subrev_co_ci_u32_e64 v11, s2, s29, v11, vcc_lo
	v_add_co_u32 v12, s2, v10, 2
	s_wait_alu 0xf1ff
	v_add_co_ci_u32_e64 v13, s2, 0, v6, s2
	v_sub_co_u32 v14, s2, v4, s28
	v_sub_co_ci_u32_e32 v5, vcc_lo, v9, v5, vcc_lo
	s_wait_alu 0xf1ff
	v_subrev_co_ci_u32_e64 v11, s2, 0, v11, s2
	s_delay_alu instid0(VALU_DEP_3) | instskip(NEXT) | instid1(VALU_DEP_3)
	v_cmp_le_u32_e32 vcc_lo, s28, v14
	v_cmp_eq_u32_e64 s2, s29, v5
	s_wait_alu 0xfffd
	v_cndmask_b32_e64 v14, 0, -1, vcc_lo
	v_cmp_le_u32_e32 vcc_lo, s29, v11
	s_wait_alu 0xfffd
	v_cndmask_b32_e64 v15, 0, -1, vcc_lo
	v_cmp_le_u32_e32 vcc_lo, s28, v4
	;; [unrolled: 3-line block ×3, first 2 shown]
	s_wait_alu 0xfffd
	v_cndmask_b32_e64 v16, 0, -1, vcc_lo
	v_cmp_eq_u32_e32 vcc_lo, s29, v11
	s_wait_alu 0xf1ff
	s_delay_alu instid0(VALU_DEP_2)
	v_cndmask_b32_e64 v4, v16, v4, s2
	s_wait_alu 0xfffd
	v_cndmask_b32_e32 v11, v15, v14, vcc_lo
	v_add_co_u32 v14, vcc_lo, v10, 1
	s_wait_alu 0xfffd
	v_add_co_ci_u32_e32 v15, vcc_lo, 0, v6, vcc_lo
	s_delay_alu instid0(VALU_DEP_3) | instskip(SKIP_1) | instid1(VALU_DEP_2)
	v_cmp_ne_u32_e32 vcc_lo, 0, v11
	s_wait_alu 0xfffd
	v_cndmask_b32_e32 v5, v15, v13, vcc_lo
	v_cndmask_b32_e32 v11, v14, v12, vcc_lo
	v_cmp_ne_u32_e32 vcc_lo, 0, v4
	s_wait_alu 0xfffd
	s_delay_alu instid0(VALU_DEP_3) | instskip(NEXT) | instid1(VALU_DEP_3)
	v_cndmask_b32_e32 v6, v6, v5, vcc_lo
	v_cndmask_b32_e32 v5, v10, v11, vcc_lo
.LBB0_4:                                ;   in Loop: Header=BB0_2 Depth=1
	s_wait_alu 0xfffe
	s_and_not1_saveexec_b32 s2, s30
	s_cbranch_execz .LBB0_6
; %bb.5:                                ;   in Loop: Header=BB0_2 Depth=1
	v_cvt_f32_u32_e32 v4, s28
	s_sub_co_i32 s30, 0, s28
	s_delay_alu instid0(VALU_DEP_1) | instskip(NEXT) | instid1(TRANS32_DEP_1)
	v_rcp_iflag_f32_e32 v4, v4
	v_mul_f32_e32 v4, 0x4f7ffffe, v4
	s_delay_alu instid0(VALU_DEP_1) | instskip(SKIP_1) | instid1(VALU_DEP_1)
	v_cvt_u32_f32_e32 v4, v4
	s_wait_alu 0xfffe
	v_mul_lo_u32 v5, s30, v4
	s_delay_alu instid0(VALU_DEP_1) | instskip(NEXT) | instid1(VALU_DEP_1)
	v_mul_hi_u32 v5, v4, v5
	v_add_nc_u32_e32 v4, v4, v5
	s_delay_alu instid0(VALU_DEP_1) | instskip(NEXT) | instid1(VALU_DEP_1)
	v_mul_hi_u32 v4, v8, v4
	v_mul_lo_u32 v5, v4, s28
	v_add_nc_u32_e32 v6, 1, v4
	s_delay_alu instid0(VALU_DEP_2) | instskip(NEXT) | instid1(VALU_DEP_1)
	v_sub_nc_u32_e32 v5, v8, v5
	v_subrev_nc_u32_e32 v10, s28, v5
	v_cmp_le_u32_e32 vcc_lo, s28, v5
	s_wait_alu 0xfffd
	s_delay_alu instid0(VALU_DEP_2) | instskip(SKIP_1) | instid1(VALU_DEP_2)
	v_cndmask_b32_e32 v5, v5, v10, vcc_lo
	v_cndmask_b32_e32 v4, v4, v6, vcc_lo
	v_cmp_le_u32_e32 vcc_lo, s28, v5
	s_delay_alu instid0(VALU_DEP_2) | instskip(SKIP_1) | instid1(VALU_DEP_1)
	v_add_nc_u32_e32 v6, 1, v4
	s_wait_alu 0xfffd
	v_dual_cndmask_b32 v5, v4, v6 :: v_dual_mov_b32 v6, v3
.LBB0_6:                                ;   in Loop: Header=BB0_2 Depth=1
	s_wait_alu 0xfffe
	s_or_b32 exec_lo, exec_lo, s2
	s_delay_alu instid0(VALU_DEP_1) | instskip(NEXT) | instid1(VALU_DEP_2)
	v_mul_lo_u32 v4, v6, s28
	v_mul_lo_u32 v12, v5, s29
	s_load_b64 s[30:31], s[22:23], 0x0
	v_mad_co_u64_u32 v[10:11], null, v5, s28, 0
	s_load_b64 s[28:29], s[20:21], 0x0
	s_add_nc_u64 s[24:25], s[24:25], 1
	s_add_nc_u64 s[20:21], s[20:21], 8
	s_wait_alu 0xfffe
	v_cmp_ge_u64_e64 s2, s[24:25], s[10:11]
	s_add_nc_u64 s[22:23], s[22:23], 8
	s_add_nc_u64 s[26:27], s[26:27], 8
	v_add3_u32 v4, v11, v12, v4
	v_sub_co_u32 v8, vcc_lo, v8, v10
	s_wait_alu 0xfffd
	s_delay_alu instid0(VALU_DEP_2) | instskip(SKIP_2) | instid1(VALU_DEP_1)
	v_sub_co_ci_u32_e32 v4, vcc_lo, v9, v4, vcc_lo
	s_and_b32 vcc_lo, exec_lo, s2
	s_wait_kmcnt 0x0
	v_mul_lo_u32 v9, s30, v4
	v_mul_lo_u32 v10, s31, v8
	v_mad_co_u64_u32 v[20:21], null, s30, v8, v[20:21]
	v_mul_lo_u32 v4, s28, v4
	v_mul_lo_u32 v11, s29, v8
	v_mad_co_u64_u32 v[1:2], null, s28, v8, v[1:2]
	s_delay_alu instid0(VALU_DEP_4) | instskip(NEXT) | instid1(VALU_DEP_2)
	v_add3_u32 v21, v10, v21, v9
	v_add3_u32 v2, v11, v2, v4
	s_wait_alu 0xfffe
	s_cbranch_vccnz .LBB0_8
; %bb.7:                                ;   in Loop: Header=BB0_2 Depth=1
	v_dual_mov_b32 v9, v6 :: v_dual_mov_b32 v8, v5
	s_branch .LBB0_2
.LBB0_8:
	s_load_b64 s[0:1], s[0:1], 0x28
	v_mul_hi_u32 v4, 0x15555556, v0
	s_lshl_b64 s[10:11], s[10:11], 3
                                        ; implicit-def: $vgpr3
	s_wait_alu 0xfffe
	s_add_nc_u64 s[2:3], s[14:15], s[10:11]
	s_wait_kmcnt 0x0
	v_cmp_gt_u64_e32 vcc_lo, s[0:1], v[5:6]
	v_cmp_le_u64_e64 s0, s[0:1], v[5:6]
	s_delay_alu instid0(VALU_DEP_1)
	s_and_saveexec_b32 s1, s0
	s_wait_alu 0xfffe
	s_xor_b32 s0, exec_lo, s1
; %bb.9:
	v_mul_u32_u24_e32 v3, 12, v4
                                        ; implicit-def: $vgpr4
                                        ; implicit-def: $vgpr20_vgpr21
	s_delay_alu instid0(VALU_DEP_1)
	v_sub_nc_u32_e32 v3, v0, v3
                                        ; implicit-def: $vgpr0
; %bb.10:
	s_wait_alu 0xfffe
	s_or_saveexec_b32 s1, s0
	s_load_b64 s[2:3], s[2:3], 0x0
                                        ; implicit-def: $vgpr9
                                        ; implicit-def: $vgpr17
                                        ; implicit-def: $vgpr15
                                        ; implicit-def: $vgpr22
                                        ; implicit-def: $vgpr32
                                        ; implicit-def: $vgpr26
                                        ; implicit-def: $vgpr24
                                        ; implicit-def: $vgpr30
                                        ; implicit-def: $vgpr28
                                        ; implicit-def: $vgpr13
                                        ; implicit-def: $vgpr19
                                        ; implicit-def: $vgpr11
	s_xor_b32 exec_lo, exec_lo, s1
	s_cbranch_execz .LBB0_14
; %bb.11:
	v_mul_u32_u24_e32 v3, 12, v4
	s_add_nc_u64 s[10:11], s[12:13], s[10:11]
	v_lshlrev_b64_e32 v[8:9], 3, v[20:21]
	s_load_b64 s[10:11], s[10:11], 0x0
                                        ; implicit-def: $vgpr29
                                        ; implicit-def: $vgpr31
	s_delay_alu instid0(VALU_DEP_2) | instskip(NEXT) | instid1(VALU_DEP_1)
	v_sub_nc_u32_e32 v3, v0, v3
	v_mad_co_u64_u32 v[10:11], null, s18, v3, 0
	v_add_nc_u32_e32 v23, 20, v3
	v_or_b32_e32 v26, 0x50, v3
	s_delay_alu instid0(VALU_DEP_3) | instskip(NEXT) | instid1(VALU_DEP_3)
	v_mov_b32_e32 v0, v11
	v_mad_co_u64_u32 v[12:13], null, s18, v23, 0
	v_add_nc_u32_e32 v25, 60, v3
	s_wait_kmcnt 0x0
	v_mul_lo_u32 v4, s11, v5
	v_mul_lo_u32 v11, s10, v6
	v_mad_co_u64_u32 v[16:17], null, s10, v5, 0
	v_mad_co_u64_u32 v[20:21], null, s19, v3, v[0:1]
	v_mov_b32_e32 v0, v13
	v_mad_co_u64_u32 v[18:19], null, s18, v25, 0
	v_add_nc_u32_e32 v24, 40, v3
	v_add3_u32 v17, v17, v11, v4
	v_mad_co_u64_u32 v[21:22], null, s18, v26, 0
	v_mov_b32_e32 v11, v20
	s_delay_alu instid0(VALU_DEP_4) | instskip(NEXT) | instid1(VALU_DEP_4)
	v_mad_co_u64_u32 v[14:15], null, s18, v24, 0
	v_lshlrev_b64_e32 v[16:17], 3, v[16:17]
	s_delay_alu instid0(VALU_DEP_2) | instskip(SKIP_2) | instid1(VALU_DEP_4)
	v_dual_mov_b32 v4, v15 :: v_dual_add_nc_u32 v27, 0x64, v3
	v_mov_b32_e32 v15, v19
	v_mad_co_u64_u32 v[19:20], null, s19, v23, v[0:1]
	v_add_co_u32 v0, s0, s4, v16
	s_delay_alu instid0(VALU_DEP_4) | instskip(SKIP_2) | instid1(VALU_DEP_3)
	v_mad_co_u64_u32 v[23:24], null, s19, v24, v[4:5]
	s_wait_alu 0xf1ff
	v_add_co_ci_u32_e64 v4, s0, s5, v17, s0
	v_add_co_u32 v0, s0, v0, v8
	v_mov_b32_e32 v13, v19
	s_wait_alu 0xf1ff
	s_delay_alu instid0(VALU_DEP_3)
	v_add_co_ci_u32_e64 v4, s0, v4, v9, s0
	v_mad_co_u64_u32 v[8:9], null, s19, v25, v[15:16]
	v_mad_co_u64_u32 v[16:17], null, s18, v27, 0
	v_lshlrev_b64_e32 v[12:13], 3, v[12:13]
	v_mov_b32_e32 v15, v23
	s_mov_b32 s4, exec_lo
                                        ; implicit-def: $vgpr25
	s_delay_alu instid0(VALU_DEP_3) | instskip(SKIP_1) | instid1(VALU_DEP_2)
	v_dual_mov_b32 v19, v8 :: v_dual_mov_b32 v8, v17
	v_lshlrev_b64_e32 v[10:11], 3, v[10:11]
	v_lshlrev_b64_e32 v[18:19], 3, v[18:19]
	s_delay_alu instid0(VALU_DEP_2) | instskip(SKIP_1) | instid1(VALU_DEP_3)
	v_add_co_u32 v9, s0, v0, v10
	s_wait_alu 0xf1ff
	v_add_co_ci_u32_e64 v10, s0, v4, v11, s0
	v_mov_b32_e32 v11, v22
	s_delay_alu instid0(VALU_DEP_1)
	v_mad_co_u64_u32 v[22:23], null, s19, v26, v[11:12]
	v_mad_co_u64_u32 v[23:24], null, s19, v27, v[8:9]
	v_add_co_u32 v11, s0, v0, v12
	s_wait_alu 0xf1ff
	v_add_co_ci_u32_e64 v12, s0, v4, v13, s0
	v_lshlrev_b64_e32 v[13:14], 3, v[14:15]
	v_lshlrev_b64_e32 v[20:21], 3, v[21:22]
	v_mov_b32_e32 v17, v23
                                        ; implicit-def: $vgpr27
	s_delay_alu instid0(VALU_DEP_3) | instskip(SKIP_1) | instid1(VALU_DEP_4)
	v_add_co_u32 v13, s0, v0, v13
	s_wait_alu 0xf1ff
	v_add_co_ci_u32_e64 v14, s0, v4, v14, s0
	v_add_co_u32 v18, s0, v0, v18
	v_lshlrev_b64_e32 v[15:16], 3, v[16:17]
	s_wait_alu 0xf1ff
	v_add_co_ci_u32_e64 v19, s0, v4, v19, s0
	v_add_co_u32 v20, s0, v0, v20
	s_wait_alu 0xf1ff
	v_add_co_ci_u32_e64 v21, s0, v4, v21, s0
	v_add_co_u32 v22, s0, v0, v15
	s_wait_alu 0xf1ff
	v_add_co_ci_u32_e64 v23, s0, v4, v16, s0
	s_clause 0x5
	global_load_b64 v[8:9], v[9:10], off
	global_load_b64 v[10:11], v[11:12], off
	;; [unrolled: 1-line block ×6, first 2 shown]
                                        ; implicit-def: $vgpr23
                                        ; implicit-def: $vgpr21
	v_cmpx_gt_u32_e32 8, v3
	s_cbranch_execz .LBB0_13
; %bb.12:
	v_add_nc_u32_e32 v26, 12, v3
	v_or_b32_e32 v33, 32, v3
	v_add_nc_u32_e32 v37, 0x5c, v3
	v_or_b32_e32 v36, 0x48, v3
	v_or_b32_e32 v38, 0x70, v3
	v_mad_co_u64_u32 v[20:21], null, s18, v26, 0
	v_mad_co_u64_u32 v[22:23], null, s18, v33, 0
	;; [unrolled: 1-line block ×3, first 2 shown]
	v_add_nc_u32_e32 v35, 52, v3
	v_mad_co_u64_u32 v[31:32], null, s18, v38, 0
	s_delay_alu instid0(VALU_DEP_4) | instskip(SKIP_1) | instid1(VALU_DEP_2)
	v_mad_co_u64_u32 v[26:27], null, s19, v26, v[21:22]
	v_mad_co_u64_u32 v[27:28], null, s18, v36, 0
	v_dual_mov_b32 v21, v26 :: v_dual_mov_b32 v26, v30
	v_mad_co_u64_u32 v[24:25], null, s18, v35, 0
	s_delay_alu instid0(VALU_DEP_1) | instskip(NEXT) | instid1(VALU_DEP_4)
	v_mad_co_u64_u32 v[33:34], null, s19, v33, v[23:24]
	v_mov_b32_e32 v23, v28
	s_delay_alu instid0(VALU_DEP_3) | instskip(NEXT) | instid1(VALU_DEP_2)
	v_mad_co_u64_u32 v[34:35], null, s19, v35, v[25:26]
	v_mad_co_u64_u32 v[35:36], null, s19, v36, v[23:24]
	s_delay_alu instid0(VALU_DEP_4) | instskip(NEXT) | instid1(VALU_DEP_2)
	v_mov_b32_e32 v23, v33
	v_dual_mov_b32 v25, v34 :: v_dual_mov_b32 v28, v35
	v_mad_co_u64_u32 v[33:34], null, s19, v37, v[26:27]
	v_mov_b32_e32 v26, v32
	v_lshlrev_b64_e32 v[20:21], 3, v[20:21]
	s_delay_alu instid0(VALU_DEP_3) | instskip(SKIP_1) | instid1(VALU_DEP_3)
	v_mov_b32_e32 v30, v33
	v_lshlrev_b64_e32 v[22:23], 3, v[22:23]
	v_add_co_u32 v20, s0, v0, v20
	s_wait_alu 0xf1ff
	s_delay_alu instid0(VALU_DEP_4) | instskip(NEXT) | instid1(VALU_DEP_3)
	v_add_co_ci_u32_e64 v21, s0, v4, v21, s0
	v_add_co_u32 v34, s0, v0, v22
	s_wait_alu 0xf1ff
	v_add_co_ci_u32_e64 v35, s0, v4, v23, s0
	v_lshlrev_b64_e32 v[22:23], 3, v[24:25]
	v_mad_co_u64_u32 v[24:25], null, s19, v38, v[26:27]
	v_lshlrev_b64_e32 v[25:26], 3, v[27:28]
	s_delay_alu instid0(VALU_DEP_3) | instskip(SKIP_1) | instid1(VALU_DEP_4)
	v_add_co_u32 v36, s0, v0, v22
	s_wait_alu 0xf1ff
	v_add_co_ci_u32_e64 v37, s0, v4, v23, s0
	s_delay_alu instid0(VALU_DEP_4)
	v_mov_b32_e32 v32, v24
	v_lshlrev_b64_e32 v[22:23], 3, v[29:30]
	v_add_co_u32 v24, s0, v0, v25
	s_wait_alu 0xf1ff
	v_add_co_ci_u32_e64 v25, s0, v4, v26, s0
	v_lshlrev_b64_e32 v[26:27], 3, v[31:32]
	s_delay_alu instid0(VALU_DEP_4) | instskip(SKIP_2) | instid1(VALU_DEP_3)
	v_add_co_u32 v38, s0, v0, v22
	s_wait_alu 0xf1ff
	v_add_co_ci_u32_e64 v39, s0, v4, v23, s0
	v_add_co_u32 v40, s0, v0, v26
	s_wait_alu 0xf1ff
	v_add_co_ci_u32_e64 v41, s0, v4, v27, s0
	s_clause 0x5
	global_load_b64 v[21:22], v[20:21], off
	global_load_b64 v[27:28], v[34:35], off
	;; [unrolled: 1-line block ×6, first 2 shown]
.LBB0_13:
	s_wait_alu 0xfffe
	s_or_b32 exec_lo, exec_lo, s4
.LBB0_14:
	s_delay_alu instid0(SALU_CYCLE_1)
	s_or_b32 exec_lo, exec_lo, s1
	v_mul_hi_u32 v0, 0xcccccccd, v7
	s_wait_loadcnt 0x1
	v_dual_add_f32 v4, v8, v16 :: v_dual_sub_f32 v33, v17, v15
	s_wait_loadcnt 0x0
	v_add_f32_e32 v36, v12, v18
	v_dual_add_f32 v20, v16, v14 :: v_dual_sub_f32 v37, v19, v13
	v_dual_add_f32 v35, v18, v10 :: v_dual_add_f32 v34, v13, v19
	v_lshrrev_b32_e32 v38, 2, v0
	v_dual_add_f32 v40, v4, v14 :: v_dual_sub_f32 v43, v29, v25
	v_fmac_f32_e32 v10, -0.5, v36
	v_fmac_f32_e32 v8, -0.5, v20
	s_delay_alu instid0(VALU_DEP_4) | instskip(SKIP_3) | instid1(VALU_DEP_4)
	v_lshl_add_u32 v36, v38, 2, v38
	v_sub_f32_e32 v18, v18, v12
	v_fma_f32 v0, -0.5, v34, v11
	v_cmp_gt_u32_e64 s0, 8, v3
	v_sub_nc_u32_e32 v7, v7, v36
	v_fmamk_f32 v36, v33, 0xbf5db3d7, v8
	v_dual_fmac_f32 v8, 0x3f5db3d7, v33 :: v_dual_add_f32 v33, v12, v35
	v_fmamk_f32 v34, v18, 0x3f5db3d7, v0
	s_delay_alu instid0(VALU_DEP_4) | instskip(SKIP_2) | instid1(VALU_DEP_2)
	v_mul_u32_u24_e32 v12, 0x78, v7
	v_add_f32_e32 v7, v25, v29
	v_fmamk_f32 v4, v37, 0xbf5db3d7, v10
	v_fma_f32 v7, -0.5, v7, v27
	v_fmac_f32_e32 v0, 0xbf5db3d7, v18
	v_fmac_f32_e32 v10, 0x3f5db3d7, v37
	v_add_f32_e32 v37, v40, v33
	v_dual_sub_f32 v40, v40, v33 :: v_dual_add_f32 v33, v26, v30
	s_delay_alu instid0(VALU_DEP_4) | instskip(NEXT) | instid1(VALU_DEP_2)
	v_mul_f32_e32 v20, 0xbf5db3d7, v0
	v_fma_f32 v33, -0.5, v33, v28
	s_delay_alu instid0(VALU_DEP_2) | instskip(NEXT) | instid1(VALU_DEP_1)
	v_fmac_f32_e32 v20, -0.5, v10
	v_dual_add_f32 v39, v8, v20 :: v_dual_mul_f32 v18, 0xbf5db3d7, v34
	v_sub_f32_e32 v42, v8, v20
	s_delay_alu instid0(VALU_DEP_4) | instskip(NEXT) | instid1(VALU_DEP_3)
	v_fmamk_f32 v8, v43, 0x3f5db3d7, v33
	v_dual_fmac_f32 v33, 0xbf5db3d7, v43 :: v_dual_fmac_f32 v18, 0.5, v4
	s_delay_alu instid0(VALU_DEP_1) | instskip(SKIP_3) | instid1(VALU_DEP_2)
	v_add_f32_e32 v38, v36, v18
	v_sub_f32_e32 v41, v36, v18
	v_mul_u32_u24_e32 v18, 6, v3
	v_sub_f32_e32 v36, v30, v26
	v_lshl_add_u32 v18, v18, 2, 0
	s_delay_alu instid0(VALU_DEP_2) | instskip(SKIP_1) | instid1(VALU_DEP_3)
	v_fmamk_f32 v35, v36, 0xbf5db3d7, v7
	v_fmac_f32_e32 v7, 0x3f5db3d7, v36
	v_lshl_add_u32 v36, v12, 2, v18
	ds_store_2addr_b64 v36, v[37:38], v[39:40] offset1:1
	ds_store_b64 v36, v[41:42] offset:16
	s_and_saveexec_b32 s1, s0
	s_cbranch_execz .LBB0_16
; %bb.15:
	v_dual_add_f32 v20, v31, v23 :: v_dual_sub_f32 v37, v32, v24
	v_dual_mul_f32 v39, 0xbf5db3d7, v33 :: v_dual_add_f32 v38, v21, v31
	v_add_f32_e32 v27, v29, v27
	s_delay_alu instid0(VALU_DEP_3) | instskip(NEXT) | instid1(VALU_DEP_3)
	v_fma_f32 v29, -0.5, v20, v21
	v_dual_mul_f32 v41, 0xbf5db3d7, v8 :: v_dual_add_f32 v42, v38, v23
	s_delay_alu instid0(VALU_DEP_3) | instskip(NEXT) | instid1(VALU_DEP_3)
	v_add_f32_e32 v25, v25, v27
	v_fmamk_f32 v20, v37, 0x3f5db3d7, v29
	s_delay_alu instid0(VALU_DEP_3) | instskip(NEXT) | instid1(VALU_DEP_3)
	v_fmac_f32_e32 v41, 0.5, v35
	v_sub_f32_e32 v21, v42, v25
	v_fmac_f32_e32 v29, 0xbf5db3d7, v37
	s_delay_alu instid0(VALU_DEP_1) | instskip(NEXT) | instid1(VALU_DEP_1)
	v_dual_fmac_f32 v39, -0.5, v7 :: v_dual_add_f32 v40, v29, v41
	v_sub_f32_e32 v38, v20, v39
	v_dual_add_f32 v20, v20, v39 :: v_dual_add_f32 v39, v42, v25
	v_sub_f32_e32 v37, v29, v41
	ds_store_2addr_b64 v36, v[39:40], v[20:21] offset0:36 offset1:37
	ds_store_b64 v36, v[37:38] offset:304
.LBB0_16:
	s_wait_alu 0xfffe
	s_or_b32 exec_lo, exec_lo, s1
	v_dual_add_f32 v20, v9, v17 :: v_dual_sub_f32 v27, v16, v14
	v_dual_add_f32 v17, v17, v15 :: v_dual_mul_f32 v42, -0.5, v0
	v_add_f32_e32 v29, v19, v11
	s_delay_alu instid0(VALU_DEP_3) | instskip(NEXT) | instid1(VALU_DEP_3)
	v_dual_add_f32 v40, v20, v15 :: v_dual_mul_f32 v41, 0x3f5db3d7, v4
	v_dual_fmac_f32 v9, -0.5, v17 :: v_dual_lshlrev_b32 v4, 2, v3
	s_delay_alu instid0(VALU_DEP_3) | instskip(SKIP_1) | instid1(VALU_DEP_4)
	v_dual_fmac_f32 v42, 0x3f5db3d7, v10 :: v_dual_add_f32 v13, v13, v29
	v_mul_i32_i24_e32 v11, 0xffffffec, v3
	v_fmac_f32_e32 v41, 0.5, v34
	s_delay_alu instid0(VALU_DEP_4) | instskip(SKIP_3) | instid1(VALU_DEP_4)
	v_fmamk_f32 v43, v27, 0x3f5db3d7, v9
	v_fmac_f32_e32 v9, 0xbf5db3d7, v27
	v_add_f32_e32 v37, v40, v13
	v_dual_sub_f32 v40, v40, v13 :: v_dual_lshlrev_b32 v25, 2, v12
	v_add_f32_e32 v38, v43, v41
	global_wb scope:SCOPE_SE
	s_wait_dscnt 0x0
	s_wait_kmcnt 0x0
	s_barrier_signal -1
	s_barrier_wait -1
	v_add3_u32 v0, v18, v11, v25
	v_add3_u32 v20, 0, v25, v4
	global_inv scope:SCOPE_SE
	ds_load_2addr_b32 v[18:19], v0 offset0:12 offset1:24
	ds_load_2addr_b32 v[16:17], v0 offset0:36 offset1:48
	;; [unrolled: 1-line block ×4, first 2 shown]
	ds_load_b32 v4, v20
	ds_load_b32 v21, v0 offset:432
	v_add_f32_e32 v39, v9, v42
	v_dual_sub_f32 v41, v43, v41 :: v_dual_sub_f32 v42, v9, v42
	global_wb scope:SCOPE_SE
	s_wait_dscnt 0x0
	s_barrier_signal -1
	s_barrier_wait -1
	global_inv scope:SCOPE_SE
	ds_store_2addr_b64 v36, v[37:38], v[39:40] offset1:1
	ds_store_b64 v36, v[41:42] offset:16
	s_and_saveexec_b32 s1, s0
	s_cbranch_execz .LBB0_18
; %bb.17:
	v_add_f32_e32 v9, v32, v24
	v_dual_add_f32 v10, v22, v32 :: v_dual_sub_f32 v13, v31, v23
	v_dual_add_f32 v23, v30, v28 :: v_dual_mul_f32 v28, -0.5, v33
	s_delay_alu instid0(VALU_DEP_3) | instskip(NEXT) | instid1(VALU_DEP_3)
	v_dual_fmac_f32 v22, -0.5, v9 :: v_dual_add_nc_u32 v9, 12, v3
	v_dual_mul_f32 v27, 0x3f5db3d7, v35 :: v_dual_add_f32 v10, v10, v24
	s_delay_alu instid0(VALU_DEP_3) | instskip(NEXT) | instid1(VALU_DEP_3)
	v_fmac_f32_e32 v28, 0x3f5db3d7, v7
	v_fmamk_f32 v24, v13, 0x3f5db3d7, v22
	s_delay_alu instid0(VALU_DEP_4) | instskip(SKIP_2) | instid1(VALU_DEP_3)
	v_mul_u32_u24_e32 v9, 6, v9
	v_dual_fmamk_f32 v13, v13, 0xbf5db3d7, v22 :: v_dual_add_f32 v22, v26, v23
	v_fmac_f32_e32 v27, 0.5, v8
	v_lshlrev_b32_e32 v23, 2, v9
	s_delay_alu instid0(VALU_DEP_3) | instskip(NEXT) | instid1(VALU_DEP_3)
	v_add_f32_e32 v9, v13, v28
	v_dual_add_f32 v7, v10, v22 :: v_dual_add_f32 v8, v24, v27
	v_sub_f32_e32 v10, v10, v22
	v_sub_f32_e32 v22, v24, v27
	v_add3_u32 v24, 0, v23, v25
	v_sub_f32_e32 v23, v13, v28
	ds_store_2addr_b64 v24, v[7:8], v[9:10] offset1:1
	ds_store_b64 v24, v[22:23] offset:16
.LBB0_18:
	s_wait_alu 0xfffe
	s_or_b32 exec_lo, exec_lo, s1
	v_dual_mov_b32 v8, 0 :: v_dual_add_nc_u32 v7, -6, v3
	v_cmp_gt_u32_e64 s0, 6, v3
	global_wb scope:SCOPE_SE
	s_wait_dscnt 0x0
	s_barrier_signal -1
	s_barrier_wait -1
	global_inv scope:SCOPE_SE
	s_wait_alu 0xf1ff
	v_cndmask_b32_e64 v13, v7, v3, s0
	s_delay_alu instid0(VALU_DEP_1) | instskip(NEXT) | instid1(VALU_DEP_1)
	v_mul_i32_i24_e32 v7, 9, v13
	v_lshlrev_b64_e32 v[9:10], 3, v[7:8]
	s_delay_alu instid0(VALU_DEP_1) | instskip(SKIP_1) | instid1(VALU_DEP_2)
	v_add_co_u32 v9, s0, s8, v9
	s_wait_alu 0xf1ff
	v_add_co_ci_u32_e64 v10, s0, s9, v10, s0
	v_cmp_lt_u32_e64 s0, 5, v3
	s_clause 0x4
	global_load_b128 v[26:29], v[9:10], off
	global_load_b128 v[30:33], v[9:10], off offset:16
	global_load_b128 v[34:37], v[9:10], off offset:32
	;; [unrolled: 1-line block ×3, first 2 shown]
	global_load_b64 v[9:10], v[9:10], off offset:64
	ds_load_2addr_b32 v[22:23], v0 offset0:12 offset1:24
	ds_load_2addr_b32 v[42:43], v0 offset0:36 offset1:48
	ds_load_2addr_b32 v[44:45], v0 offset0:60 offset1:72
	ds_load_2addr_b32 v[46:47], v0 offset0:84 offset1:96
	ds_load_b32 v24, v20
	ds_load_b32 v48, v0 offset:432
	s_wait_alu 0xf1ff
	v_cndmask_b32_e64 v7, 0, 0xf0, s0
	v_lshlrev_b32_e32 v13, 2, v13
	global_wb scope:SCOPE_SE
	s_wait_loadcnt_dscnt 0x0
	s_barrier_signal -1
	s_barrier_wait -1
	v_add_nc_u32_e32 v7, 0, v7
	global_inv scope:SCOPE_SE
	v_mul_f32_e32 v50, v43, v33
	v_dual_mul_f32 v52, v45, v37 :: v_dual_mul_f32 v49, v42, v31
	v_dual_mul_f32 v54, v47, v41 :: v_dual_mul_f32 v55, v48, v10
	v_mul_f32_e32 v10, v21, v10
	v_add3_u32 v25, v7, v13, v25
	v_mul_f32_e32 v7, v22, v27
	v_mul_f32_e32 v13, v18, v27
	v_dual_mul_f32 v27, v23, v29 :: v_dual_fmac_f32 v50, v17, v32
	v_dual_mul_f32 v29, v19, v29 :: v_dual_fmac_f32 v54, v12, v40
	v_dual_fmac_f32 v52, v15, v36 :: v_dual_fmac_f32 v55, v21, v9
	v_fmac_f32_e32 v49, v16, v30
	s_delay_alu instid0(VALU_DEP_4)
	v_fmac_f32_e32 v27, v19, v28
	v_mul_f32_e32 v51, v44, v35
	v_mul_f32_e32 v31, v16, v31
	v_fma_f32 v9, v48, v9, -v10
	v_fmac_f32_e32 v7, v18, v26
	v_fma_f32 v18, v23, v28, -v29
	v_add_f32_e32 v28, v27, v54
	v_fmac_f32_e32 v51, v14, v34
	v_fma_f32 v13, v22, v26, -v13
	v_sub_f32_e32 v26, v54, v52
	v_fma_f32 v16, v42, v30, -v31
	v_dual_mul_f32 v35, v14, v35 :: v_dual_sub_f32 v30, v52, v54
	v_sub_f32_e32 v42, v49, v51
	v_dual_mul_f32 v33, v17, v33 :: v_dual_add_f32 v10, v4, v27
	s_delay_alu instid0(VALU_DEP_3) | instskip(SKIP_2) | instid1(VALU_DEP_4)
	v_fma_f32 v14, v44, v34, -v35
	v_add_f32_e32 v31, v24, v18
	v_sub_f32_e32 v23, v27, v50
	v_fma_f32 v17, v43, v32, -v33
	v_mul_f32_e32 v37, v15, v37
	v_mul_f32_e32 v53, v46, v39
	v_dual_mul_f32 v39, v11, v39 :: v_dual_add_f32 v10, v10, v50
	s_delay_alu instid0(VALU_DEP_4) | instskip(NEXT) | instid1(VALU_DEP_4)
	v_sub_f32_e32 v34, v18, v17
	v_fma_f32 v15, v45, v36, -v37
	v_mul_f32_e32 v41, v12, v41
	s_delay_alu instid0(VALU_DEP_4) | instskip(NEXT) | instid1(VALU_DEP_3)
	v_dual_sub_f32 v57, v16, v14 :: v_dual_add_f32 v10, v10, v52
	v_add_f32_e32 v32, v17, v15
	s_delay_alu instid0(VALU_DEP_3) | instskip(SKIP_3) | instid1(VALU_DEP_4)
	v_fma_f32 v12, v47, v40, -v41
	v_sub_f32_e32 v40, v16, v9
	v_sub_f32_e32 v22, v17, v15
	v_add_f32_e32 v10, v10, v54
	v_sub_f32_e32 v21, v18, v12
	v_add_f32_e32 v36, v18, v12
	v_sub_f32_e32 v18, v17, v18
	v_fmac_f32_e32 v53, v11, v38
	v_fma_f32 v11, v46, v38, -v39
	v_sub_f32_e32 v29, v50, v27
	v_sub_f32_e32 v35, v12, v15
	s_delay_alu instid0(VALU_DEP_3)
	v_dual_sub_f32 v27, v27, v54 :: v_dual_add_f32 v48, v14, v11
	v_sub_f32_e32 v46, v53, v55
	v_add_f32_e32 v38, v7, v49
	v_dual_add_f32 v44, v49, v55 :: v_dual_add_f32 v19, v50, v52
	v_sub_f32_e32 v56, v51, v53
	v_sub_f32_e32 v37, v15, v12
	v_add_f32_e32 v47, v13, v16
	v_sub_f32_e32 v58, v9, v11
	v_sub_f32_e32 v60, v11, v9
	v_fma_f32 v19, -0.5, v19, v4
	v_dual_fmac_f32 v4, -0.5, v28 :: v_dual_add_f32 v59, v16, v9
	v_sub_f32_e32 v16, v14, v16
	v_sub_f32_e32 v33, v50, v52
	;; [unrolled: 1-line block ×4, first 2 shown]
	v_add_f32_e32 v17, v31, v17
	v_fma_f32 v28, -0.5, v32, v24
	v_dual_fmac_f32 v24, -0.5, v36 :: v_dual_add_f32 v23, v23, v26
	v_dual_add_f32 v26, v29, v30 :: v_dual_add_f32 v29, v34, v35
	v_add_f32_e32 v30, v38, v51
	v_dual_add_f32 v18, v18, v37 :: v_dual_sub_f32 v49, v49, v55
	v_fma_f32 v35, -0.5, v48, v13
	v_dual_add_f32 v36, v57, v58 :: v_dual_add_f32 v39, v51, v53
	v_add_f32_e32 v32, v42, v43
	v_dual_add_f32 v16, v16, v60 :: v_dual_sub_f32 v41, v14, v11
	v_add_f32_e32 v34, v45, v46
	v_add_f32_e32 v14, v47, v14
	v_dual_fmamk_f32 v38, v22, 0x3f737871, v4 :: v_dual_fmac_f32 v13, -0.5, v59
	v_fma_f32 v31, -0.5, v39, v7
	v_dual_fmac_f32 v7, -0.5, v44 :: v_dual_fmac_f32 v4, 0xbf737871, v22
	v_add_f32_e32 v15, v17, v15
	v_fmamk_f32 v39, v27, 0x3f737871, v28
	v_dual_fmamk_f32 v42, v33, 0xbf737871, v24 :: v_dual_add_f32 v17, v30, v53
	v_dual_fmamk_f32 v44, v56, 0xbf737871, v13 :: v_dual_add_f32 v11, v14, v11
	v_fmac_f32_e32 v38, 0xbf167918, v21
	v_fmamk_f32 v37, v21, 0xbf737871, v19
	v_fmac_f32_e32 v19, 0x3f737871, v21
	v_fmac_f32_e32 v24, 0x3f737871, v33
	v_fmamk_f32 v30, v40, 0xbf737871, v31
	v_fmamk_f32 v14, v49, 0x3f737871, v35
	v_dual_fmac_f32 v4, 0x3f167918, v21 :: v_dual_add_f32 v21, v15, v12
	v_dual_fmac_f32 v39, 0x3f167918, v33 :: v_dual_fmac_f32 v42, 0x3f167918, v27
	s_delay_alu instid0(VALU_DEP_3)
	v_fmac_f32_e32 v14, 0x3f167918, v56
	v_dual_add_f32 v12, v17, v55 :: v_dual_fmac_f32 v19, 0x3f167918, v22
	v_fmac_f32_e32 v44, 0x3f167918, v49
	v_fmac_f32_e32 v28, 0xbf737871, v27
	v_fmamk_f32 v43, v41, 0x3f737871, v7
	v_dual_fmac_f32 v37, 0xbf167918, v22 :: v_dual_add_f32 v22, v11, v9
	v_dual_fmac_f32 v39, 0x3e9e377a, v29 :: v_dual_fmac_f32 v42, 0x3e9e377a, v18
	v_add_f32_e32 v9, v10, v12
	v_fmac_f32_e32 v44, 0x3e9e377a, v16
	v_dual_fmac_f32 v7, 0xbf737871, v41 :: v_dual_sub_f32 v10, v10, v12
	v_dual_fmac_f32 v24, 0xbf167918, v27 :: v_dual_fmac_f32 v43, 0xbf167918, v40
	s_delay_alu instid0(VALU_DEP_3) | instskip(SKIP_2) | instid1(VALU_DEP_4)
	v_mul_f32_e32 v12, 0xbf737871, v44
	v_fmac_f32_e32 v28, 0xbf167918, v33
	v_dual_fmac_f32 v37, 0x3e9e377a, v23 :: v_dual_fmac_f32 v38, 0x3e9e377a, v26
	v_fmac_f32_e32 v24, 0x3e9e377a, v18
	v_fmac_f32_e32 v7, 0x3f167918, v40
	v_dual_fmac_f32 v19, 0x3e9e377a, v23 :: v_dual_fmac_f32 v4, 0x3e9e377a, v26
	v_dual_fmac_f32 v43, 0x3e9e377a, v34 :: v_dual_fmac_f32 v14, 0x3e9e377a, v36
	s_delay_alu instid0(VALU_DEP_3) | instskip(SKIP_1) | instid1(VALU_DEP_3)
	v_dual_fmac_f32 v7, 0x3e9e377a, v34 :: v_dual_mul_f32 v26, 0x3e9e377a, v44
	v_fmac_f32_e32 v13, 0x3f737871, v56
	v_fmac_f32_e32 v12, 0x3e9e377a, v43
	s_delay_alu instid0(VALU_DEP_4) | instskip(SKIP_3) | instid1(VALU_DEP_1)
	v_mul_f32_e32 v11, 0xbf167918, v14
	v_dual_fmac_f32 v31, 0x3f737871, v40 :: v_dual_add_f32 v18, v21, v22
	v_fmac_f32_e32 v26, 0x3f737871, v43
	v_fmac_f32_e32 v13, 0xbf167918, v49
	;; [unrolled: 1-line block ×3, first 2 shown]
	s_delay_alu instid0(VALU_DEP_1) | instskip(SKIP_2) | instid1(VALU_DEP_3)
	v_mul_f32_e32 v15, 0xbf737871, v13
	v_mul_f32_e32 v27, 0xbe9e377a, v13
	v_add_f32_e32 v13, v38, v12
	v_dual_sub_f32 v12, v38, v12 :: v_dual_fmac_f32 v15, 0xbe9e377a, v7
	v_fmac_f32_e32 v35, 0xbf737871, v49
	v_mul_f32_e32 v23, 0x3f4f1bbd, v14
	v_fmac_f32_e32 v27, 0x3f737871, v7
	s_delay_alu instid0(VALU_DEP_4) | instskip(SKIP_2) | instid1(VALU_DEP_1)
	v_add_f32_e32 v14, v4, v15
	v_sub_f32_e32 v4, v4, v15
	v_dual_fmac_f32 v30, 0xbf167918, v41 :: v_dual_fmac_f32 v35, 0xbf167918, v56
	v_fmac_f32_e32 v30, 0x3e9e377a, v32
	s_delay_alu instid0(VALU_DEP_2) | instskip(NEXT) | instid1(VALU_DEP_2)
	v_fmac_f32_e32 v35, 0x3e9e377a, v36
	v_fmac_f32_e32 v11, 0x3f4f1bbd, v30
	s_delay_alu instid0(VALU_DEP_2) | instskip(NEXT) | instid1(VALU_DEP_2)
	v_mul_f32_e32 v16, 0xbf167918, v35
	v_add_f32_e32 v7, v37, v11
	v_fmac_f32_e32 v23, 0x3f167918, v30
	v_fmac_f32_e32 v31, 0x3f167918, v41
	v_sub_f32_e32 v11, v37, v11
	s_delay_alu instid0(VALU_DEP_3) | instskip(NEXT) | instid1(VALU_DEP_3)
	v_add_f32_e32 v30, v39, v23
	v_dual_fmac_f32 v28, 0x3e9e377a, v29 :: v_dual_fmac_f32 v31, 0x3e9e377a, v32
	v_mul_f32_e32 v29, 0xbf4f1bbd, v35
	v_add_f32_e32 v32, v24, v27
	s_delay_alu instid0(VALU_DEP_3) | instskip(NEXT) | instid1(VALU_DEP_3)
	v_fmac_f32_e32 v16, 0xbf4f1bbd, v31
	v_fmac_f32_e32 v29, 0x3f167918, v31
	v_add_f32_e32 v31, v42, v26
	s_delay_alu instid0(VALU_DEP_3)
	v_add_f32_e32 v17, v19, v16
	v_sub_f32_e32 v15, v19, v16
	v_sub_f32_e32 v19, v21, v22
	ds_store_2addr_b32 v25, v9, v7 offset1:6
	ds_store_2addr_b32 v25, v13, v14 offset0:12 offset1:18
	ds_store_2addr_b32 v25, v17, v10 offset0:24 offset1:30
	;; [unrolled: 1-line block ×4, first 2 shown]
	global_wb scope:SCOPE_SE
	s_wait_dscnt 0x0
	s_barrier_signal -1
	s_barrier_wait -1
	global_inv scope:SCOPE_SE
	ds_load_2addr_b32 v[13:14], v0 offset0:60 offset1:72
	ds_load_2addr_b32 v[9:10], v0 offset0:12 offset1:24
	;; [unrolled: 1-line block ×4, first 2 shown]
	ds_load_b32 v7, v20
	ds_load_b32 v17, v0 offset:432
	v_dual_add_f32 v4, v28, v29 :: v_dual_sub_f32 v21, v39, v23
	v_dual_sub_f32 v22, v42, v26 :: v_dual_sub_f32 v23, v24, v27
	v_sub_f32_e32 v24, v28, v29
	global_wb scope:SCOPE_SE
	s_wait_dscnt 0x0
	s_barrier_signal -1
	s_barrier_wait -1
	global_inv scope:SCOPE_SE
	ds_store_2addr_b32 v25, v18, v30 offset1:6
	ds_store_2addr_b32 v25, v31, v32 offset0:12 offset1:18
	ds_store_2addr_b32 v25, v4, v19 offset0:24 offset1:30
	;; [unrolled: 1-line block ×4, first 2 shown]
	global_wb scope:SCOPE_SE
	s_wait_dscnt 0x0
	s_barrier_signal -1
	s_barrier_wait -1
	global_inv scope:SCOPE_SE
	s_and_saveexec_b32 s0, vcc_lo
	s_cbranch_execz .LBB0_20
; %bb.19:
	v_dual_mov_b32 v4, v8 :: v_dual_add_nc_u32 v39, 24, v3
	v_mul_hi_u32 v37, 0x88888889, v3
	v_add_nc_u32_e32 v38, 12, v3
	v_mul_lo_u32 v8, s3, v5
	s_delay_alu instid0(VALU_DEP_4)
	v_lshlrev_b64_e32 v[18:19], 3, v[3:4]
	v_mul_lo_u32 v6, s2, v6
	v_mad_co_u64_u32 v[4:5], null, s2, v5, 0
	v_mul_hi_u32 v42, 0x88888889, v38
	v_lshrrev_b32_e32 v37, 5, v37
	v_add_co_u32 v18, vcc_lo, s8, v18
	s_wait_alu 0xfffd
	v_add_co_ci_u32_e32 v19, vcc_lo, s9, v19, vcc_lo
	v_add3_u32 v5, v5, v6, v8
	v_add_nc_u32_e32 v41, 48, v3
	v_lshrrev_b32_e32 v6, 5, v42
	s_clause 0x4
	global_load_b64 v[21:22], v[18:19], off offset:816
	global_load_b64 v[23:24], v[18:19], off offset:720
	;; [unrolled: 1-line block ×5, first 2 shown]
	ds_load_2addr_b32 v[29:30], v0 offset0:36 offset1:48
	ds_load_2addr_b32 v[31:32], v0 offset0:84 offset1:96
	ds_load_2addr_b32 v[33:34], v0 offset0:12 offset1:24
	ds_load_2addr_b32 v[35:36], v0 offset0:60 offset1:72
	ds_load_b32 v62, v0 offset:432
	ds_load_b32 v63, v20
	v_lshlrev_b64_e32 v[0:1], 3, v[1:2]
	v_mul_lo_u32 v2, v37, 60
	v_mul_lo_u32 v37, v6, 60
	v_mul_hi_u32 v43, 0x88888889, v39
	v_mul_hi_u32 v45, 0x88888889, v41
	v_lshlrev_b64_e32 v[4:5], 3, v[4:5]
	v_sub_nc_u32_e32 v46, v3, v2
	v_sub_nc_u32_e32 v2, v38, v37
	v_lshrrev_b32_e32 v8, 5, v43
	v_lshrrev_b32_e32 v42, 5, v45
	v_add_co_u32 v4, vcc_lo, s6, v4
	v_add_nc_u32_e32 v48, 60, v46
	s_delay_alu instid0(VALU_DEP_4) | instskip(NEXT) | instid1(VALU_DEP_4)
	v_mul_lo_u32 v43, v8, 60
	v_mul_lo_u32 v45, v42, 60
	s_wait_alu 0xfffd
	v_add_co_ci_u32_e32 v5, vcc_lo, s7, v5, vcc_lo
	v_mad_co_u64_u32 v[37:38], null, s16, v48, 0
	v_add_nc_u32_e32 v40, 36, v3
	v_add_co_u32 v64, vcc_lo, v4, v0
	v_sub_nc_u32_e32 v3, v39, v43
	s_wait_alu 0xfffd
	v_add_co_ci_u32_e32 v65, vcc_lo, v5, v1, vcc_lo
	v_mul_hi_u32 v44, 0x88888889, v40
	v_sub_nc_u32_e32 v5, v41, v45
	v_mad_co_u64_u32 v[0:1], null, s16, v46, 0
	s_delay_alu instid0(VALU_DEP_3) | instskip(NEXT) | instid1(VALU_DEP_1)
	v_lshrrev_b32_e32 v20, 5, v44
	v_mul_lo_u32 v44, v20, 60
	s_delay_alu instid0(VALU_DEP_1) | instskip(SKIP_1) | instid1(VALU_DEP_2)
	v_sub_nc_u32_e32 v4, v40, v44
	v_mad_co_u64_u32 v[39:40], null, 0x78, v6, v[2:3]
	v_mad_co_u64_u32 v[2:3], null, 0x78, v8, v[3:4]
	;; [unrolled: 1-line block ×4, first 2 shown]
	s_delay_alu instid0(VALU_DEP_4) | instskip(NEXT) | instid1(VALU_DEP_4)
	v_mad_co_u64_u32 v[40:41], null, s16, v39, 0
	v_mad_co_u64_u32 v[5:6], null, s17, v46, v[1:2]
	v_mov_b32_e32 v1, v38
	v_mad_co_u64_u32 v[44:45], null, s16, v3, 0
	v_mad_co_u64_u32 v[46:47], null, s16, v4, 0
	;; [unrolled: 1-line block ×3, first 2 shown]
	v_add_nc_u32_e32 v61, 60, v39
	v_add_nc_u32_e32 v67, 60, v3
	v_mad_co_u64_u32 v[48:49], null, s17, v48, v[1:2]
	v_mov_b32_e32 v20, v47
	v_mov_b32_e32 v8, v45
	v_mad_co_u64_u32 v[49:50], null, s16, v61, 0
	v_mad_co_u64_u32 v[53:54], null, s16, v67, 0
	v_mov_b32_e32 v6, v43
	v_add_nc_u32_e32 v66, 60, v2
	v_dual_mov_b32 v1, v5 :: v_dual_add_nc_u32 v68, 60, v4
	v_mov_b32_e32 v5, v41
	s_delay_alu instid0(VALU_DEP_4) | instskip(SKIP_2) | instid1(VALU_DEP_4)
	v_mad_co_u64_u32 v[57:58], null, s17, v2, v[6:7]
	v_mov_b32_e32 v38, v48
	v_mad_co_u64_u32 v[58:59], null, s17, v3, v[8:9]
	v_mad_co_u64_u32 v[47:48], null, s17, v39, v[5:6]
	v_mov_b32_e32 v5, v50
	v_mad_co_u64_u32 v[51:52], null, s16, v66, 0
	v_mov_b32_e32 v3, v54
	;; [unrolled: 2-line block ×3, first 2 shown]
	v_mad_co_u64_u32 v[5:6], null, s17, v61, v[5:6]
	v_dual_mov_b32 v2, v52 :: v_dual_mov_b32 v43, v57
	v_lshlrev_b64_e32 v[0:1], 3, v[0:1]
	s_delay_alu instid0(VALU_DEP_4) | instskip(SKIP_2) | instid1(VALU_DEP_4)
	v_lshlrev_b64_e32 v[39:40], 3, v[40:41]
	v_lshlrev_b64_e32 v[37:38], 3, v[37:38]
	v_dual_mov_b32 v45, v58 :: v_dual_mov_b32 v50, v5
	v_add_co_u32 v0, vcc_lo, v64, v0
	s_wait_alu 0xfffd
	v_add_co_ci_u32_e32 v1, vcc_lo, v65, v1, vcc_lo
	s_delay_alu instid0(VALU_DEP_4)
	v_add_co_u32 v37, vcc_lo, v64, v37
	s_wait_alu 0xfffd
	v_add_co_ci_u32_e32 v38, vcc_lo, v65, v38, vcc_lo
	v_add_co_u32 v39, vcc_lo, v64, v39
	s_wait_alu 0xfffd
	v_add_co_ci_u32_e32 v40, vcc_lo, v65, v40, vcc_lo
	s_wait_loadcnt 0x4
	v_mad_co_u64_u32 v[59:60], null, s17, v4, v[20:21]
	v_mov_b32_e32 v4, v56
	v_mad_co_u64_u32 v[60:61], null, s17, v66, v[2:3]
	s_delay_alu instid0(VALU_DEP_2) | instskip(SKIP_1) | instid1(VALU_DEP_3)
	v_mad_co_u64_u32 v[2:3], null, s17, v67, v[3:4]
	v_mad_co_u64_u32 v[3:4], null, s17, v68, v[4:5]
	v_dual_mov_b32 v47, v59 :: v_dual_mov_b32 v52, v60
	v_lshlrev_b64_e32 v[4:5], 3, v[42:43]
	v_lshlrev_b64_e32 v[41:42], 3, v[44:45]
	v_mov_b32_e32 v54, v2
	v_lshlrev_b64_e32 v[43:44], 3, v[49:50]
	v_mov_b32_e32 v56, v3
	v_lshlrev_b64_e32 v[2:3], 3, v[46:47]
	v_lshlrev_b64_e32 v[45:46], 3, v[51:52]
	;; [unrolled: 1-line block ×3, first 2 shown]
	s_wait_loadcnt_dscnt 0x2
	v_mul_f32_e32 v53, v35, v19
	v_mul_f32_e32 v51, v14, v28
	v_add_co_u32 v4, vcc_lo, v64, v4
	v_mul_f32_e32 v52, v13, v19
	s_delay_alu instid0(VALU_DEP_4) | instskip(SKIP_3) | instid1(VALU_DEP_3)
	v_dual_fmac_f32 v53, v13, v18 :: v_dual_mul_f32 v28, v36, v28
	s_wait_alu 0xfffd
	v_add_co_ci_u32_e32 v5, vcc_lo, v65, v5, vcc_lo
	v_add_co_u32 v41, vcc_lo, v64, v41
	v_fmac_f32_e32 v28, v14, v27
	s_wait_dscnt 0x1
	v_mul_f32_e32 v8, v62, v22
	s_wait_alu 0xfffd
	v_add_co_ci_u32_e32 v42, vcc_lo, v65, v42, vcc_lo
	v_add_co_u32 v2, vcc_lo, v64, v2
	s_delay_alu instid0(VALU_DEP_3)
	v_fmac_f32_e32 v8, v17, v21
	v_mul_f32_e32 v6, v17, v22
	v_mul_f32_e32 v22, v32, v24
	s_wait_alu 0xfffd
	v_add_co_ci_u32_e32 v3, vcc_lo, v65, v3, vcc_lo
	v_sub_f32_e32 v13, v12, v8
	v_fma_f32 v6, v62, v21, -v6
	v_fmac_f32_e32 v22, v16, v23
	v_mul_f32_e32 v20, v16, v24
	v_mul_f32_e32 v24, v15, v26
	;; [unrolled: 1-line block ×3, first 2 shown]
	v_fma_f32 v21, v35, v18, -v52
	v_add_co_u32 v43, vcc_lo, v64, v43
	s_delay_alu instid0(VALU_DEP_4) | instskip(NEXT) | instid1(VALU_DEP_4)
	v_fma_f32 v19, v31, v25, -v24
	v_fmac_f32_e32 v26, v15, v25
	v_sub_f32_e32 v15, v11, v22
	v_fma_f32 v17, v32, v23, -v20
	v_fma_f32 v20, v36, v27, -v51
	s_wait_dscnt 0x0
	v_sub_f32_e32 v22, v63, v21
	v_sub_f32_e32 v21, v7, v53
	s_wait_alu 0xfffd
	v_add_co_ci_u32_e32 v44, vcc_lo, v65, v44, vcc_lo
	v_lshlrev_b64_e32 v[49:50], 3, v[55:56]
	v_add_co_u32 v45, vcc_lo, v64, v45
	v_sub_f32_e32 v18, v34, v19
	v_sub_f32_e32 v20, v33, v20
	;; [unrolled: 1-line block ×3, first 2 shown]
	s_wait_alu 0xfffd
	v_add_co_ci_u32_e32 v46, vcc_lo, v65, v46, vcc_lo
	v_dual_sub_f32 v16, v29, v17 :: v_dual_sub_f32 v17, v10, v26
	v_add_co_u32 v47, vcc_lo, v64, v47
	v_sub_f32_e32 v14, v30, v6
	v_fma_f32 v8, v63, 2.0, -v22
	v_fma_f32 v7, v7, 2.0, -v21
	s_wait_alu 0xfffd
	v_add_co_ci_u32_e32 v48, vcc_lo, v65, v48, vcc_lo
	v_fma_f32 v26, v33, 2.0, -v20
	v_fma_f32 v25, v9, 2.0, -v19
	v_add_co_u32 v49, vcc_lo, v64, v49
	v_fma_f32 v28, v34, 2.0, -v18
	v_fma_f32 v27, v10, 2.0, -v17
	s_wait_alu 0xfffd
	v_add_co_ci_u32_e32 v50, vcc_lo, v65, v50, vcc_lo
	v_fma_f32 v24, v30, 2.0, -v14
	v_fma_f32 v23, v12, 2.0, -v13
	;; [unrolled: 1-line block ×4, first 2 shown]
	s_clause 0x9
	global_store_b64 v[0:1], v[7:8], off
	global_store_b64 v[37:38], v[21:22], off
	;; [unrolled: 1-line block ×10, first 2 shown]
.LBB0_20:
	s_nop 0
	s_sendmsg sendmsg(MSG_DEALLOC_VGPRS)
	s_endpgm
	.section	.rodata,"a",@progbits
	.p2align	6, 0x0
	.amdhsa_kernel fft_rtc_back_len120_factors_6_10_2_wgs_60_tpt_12_halfLds_sp_op_CI_CI_sbrr_dirReg
		.amdhsa_group_segment_fixed_size 0
		.amdhsa_private_segment_fixed_size 0
		.amdhsa_kernarg_size 104
		.amdhsa_user_sgpr_count 2
		.amdhsa_user_sgpr_dispatch_ptr 0
		.amdhsa_user_sgpr_queue_ptr 0
		.amdhsa_user_sgpr_kernarg_segment_ptr 1
		.amdhsa_user_sgpr_dispatch_id 0
		.amdhsa_user_sgpr_private_segment_size 0
		.amdhsa_wavefront_size32 1
		.amdhsa_uses_dynamic_stack 0
		.amdhsa_enable_private_segment 0
		.amdhsa_system_sgpr_workgroup_id_x 1
		.amdhsa_system_sgpr_workgroup_id_y 0
		.amdhsa_system_sgpr_workgroup_id_z 0
		.amdhsa_system_sgpr_workgroup_info 0
		.amdhsa_system_vgpr_workitem_id 0
		.amdhsa_next_free_vgpr 69
		.amdhsa_next_free_sgpr 43
		.amdhsa_reserve_vcc 1
		.amdhsa_float_round_mode_32 0
		.amdhsa_float_round_mode_16_64 0
		.amdhsa_float_denorm_mode_32 3
		.amdhsa_float_denorm_mode_16_64 3
		.amdhsa_fp16_overflow 0
		.amdhsa_workgroup_processor_mode 1
		.amdhsa_memory_ordered 1
		.amdhsa_forward_progress 0
		.amdhsa_round_robin_scheduling 0
		.amdhsa_exception_fp_ieee_invalid_op 0
		.amdhsa_exception_fp_denorm_src 0
		.amdhsa_exception_fp_ieee_div_zero 0
		.amdhsa_exception_fp_ieee_overflow 0
		.amdhsa_exception_fp_ieee_underflow 0
		.amdhsa_exception_fp_ieee_inexact 0
		.amdhsa_exception_int_div_zero 0
	.end_amdhsa_kernel
	.text
.Lfunc_end0:
	.size	fft_rtc_back_len120_factors_6_10_2_wgs_60_tpt_12_halfLds_sp_op_CI_CI_sbrr_dirReg, .Lfunc_end0-fft_rtc_back_len120_factors_6_10_2_wgs_60_tpt_12_halfLds_sp_op_CI_CI_sbrr_dirReg
                                        ; -- End function
	.section	.AMDGPU.csdata,"",@progbits
; Kernel info:
; codeLenInByte = 6152
; NumSgprs: 45
; NumVgprs: 69
; ScratchSize: 0
; MemoryBound: 0
; FloatMode: 240
; IeeeMode: 1
; LDSByteSize: 0 bytes/workgroup (compile time only)
; SGPRBlocks: 5
; VGPRBlocks: 8
; NumSGPRsForWavesPerEU: 45
; NumVGPRsForWavesPerEU: 69
; Occupancy: 16
; WaveLimiterHint : 1
; COMPUTE_PGM_RSRC2:SCRATCH_EN: 0
; COMPUTE_PGM_RSRC2:USER_SGPR: 2
; COMPUTE_PGM_RSRC2:TRAP_HANDLER: 0
; COMPUTE_PGM_RSRC2:TGID_X_EN: 1
; COMPUTE_PGM_RSRC2:TGID_Y_EN: 0
; COMPUTE_PGM_RSRC2:TGID_Z_EN: 0
; COMPUTE_PGM_RSRC2:TIDIG_COMP_CNT: 0
	.text
	.p2alignl 7, 3214868480
	.fill 96, 4, 3214868480
	.type	__hip_cuid_5c53e8ad6d6b38f5,@object ; @__hip_cuid_5c53e8ad6d6b38f5
	.section	.bss,"aw",@nobits
	.globl	__hip_cuid_5c53e8ad6d6b38f5
__hip_cuid_5c53e8ad6d6b38f5:
	.byte	0                               ; 0x0
	.size	__hip_cuid_5c53e8ad6d6b38f5, 1

	.ident	"AMD clang version 19.0.0git (https://github.com/RadeonOpenCompute/llvm-project roc-6.4.0 25133 c7fe45cf4b819c5991fe208aaa96edf142730f1d)"
	.section	".note.GNU-stack","",@progbits
	.addrsig
	.addrsig_sym __hip_cuid_5c53e8ad6d6b38f5
	.amdgpu_metadata
---
amdhsa.kernels:
  - .args:
      - .actual_access:  read_only
        .address_space:  global
        .offset:         0
        .size:           8
        .value_kind:     global_buffer
      - .offset:         8
        .size:           8
        .value_kind:     by_value
      - .actual_access:  read_only
        .address_space:  global
        .offset:         16
        .size:           8
        .value_kind:     global_buffer
      - .actual_access:  read_only
        .address_space:  global
        .offset:         24
        .size:           8
        .value_kind:     global_buffer
      - .actual_access:  read_only
        .address_space:  global
        .offset:         32
        .size:           8
        .value_kind:     global_buffer
      - .offset:         40
        .size:           8
        .value_kind:     by_value
      - .actual_access:  read_only
        .address_space:  global
        .offset:         48
        .size:           8
        .value_kind:     global_buffer
      - .actual_access:  read_only
        .address_space:  global
        .offset:         56
        .size:           8
        .value_kind:     global_buffer
      - .offset:         64
        .size:           4
        .value_kind:     by_value
      - .actual_access:  read_only
        .address_space:  global
        .offset:         72
        .size:           8
        .value_kind:     global_buffer
      - .actual_access:  read_only
        .address_space:  global
        .offset:         80
        .size:           8
        .value_kind:     global_buffer
      - .actual_access:  read_only
        .address_space:  global
        .offset:         88
        .size:           8
        .value_kind:     global_buffer
      - .actual_access:  write_only
        .address_space:  global
        .offset:         96
        .size:           8
        .value_kind:     global_buffer
    .group_segment_fixed_size: 0
    .kernarg_segment_align: 8
    .kernarg_segment_size: 104
    .language:       OpenCL C
    .language_version:
      - 2
      - 0
    .max_flat_workgroup_size: 60
    .name:           fft_rtc_back_len120_factors_6_10_2_wgs_60_tpt_12_halfLds_sp_op_CI_CI_sbrr_dirReg
    .private_segment_fixed_size: 0
    .sgpr_count:     45
    .sgpr_spill_count: 0
    .symbol:         fft_rtc_back_len120_factors_6_10_2_wgs_60_tpt_12_halfLds_sp_op_CI_CI_sbrr_dirReg.kd
    .uniform_work_group_size: 1
    .uses_dynamic_stack: false
    .vgpr_count:     69
    .vgpr_spill_count: 0
    .wavefront_size: 32
    .workgroup_processor_mode: 1
amdhsa.target:   amdgcn-amd-amdhsa--gfx1201
amdhsa.version:
  - 1
  - 2
...

	.end_amdgpu_metadata
